;; amdgpu-corpus repo=ROCm/rocFFT kind=compiled arch=gfx906 opt=O3
	.text
	.amdgcn_target "amdgcn-amd-amdhsa--gfx906"
	.amdhsa_code_object_version 6
	.protected	fft_rtc_fwd_len80_factors_10_8_wgs_160_tpt_10_sp_op_CI_CI_sbcc_twdbase8_3step_dirReg ; -- Begin function fft_rtc_fwd_len80_factors_10_8_wgs_160_tpt_10_sp_op_CI_CI_sbcc_twdbase8_3step_dirReg
	.globl	fft_rtc_fwd_len80_factors_10_8_wgs_160_tpt_10_sp_op_CI_CI_sbcc_twdbase8_3step_dirReg
	.p2align	8
	.type	fft_rtc_fwd_len80_factors_10_8_wgs_160_tpt_10_sp_op_CI_CI_sbcc_twdbase8_3step_dirReg,@function
fft_rtc_fwd_len80_factors_10_8_wgs_160_tpt_10_sp_op_CI_CI_sbcc_twdbase8_3step_dirReg: ; @fft_rtc_fwd_len80_factors_10_8_wgs_160_tpt_10_sp_op_CI_CI_sbcc_twdbase8_3step_dirReg
; %bb.0:
	s_load_dwordx4 s[0:3], s[4:5], 0x18
	s_load_dwordx2 s[30:31], s[4:5], 0x28
	s_mov_b32 s7, 0
	s_mov_b64 s[24:25], 0
	s_waitcnt lgkmcnt(0)
	s_load_dwordx2 s[28:29], s[0:1], 0x8
	s_waitcnt lgkmcnt(0)
	s_add_u32 s8, s28, -1
	s_addc_u32 s9, s29, -1
	s_lshr_b64 s[8:9], s[8:9], 4
	s_add_u32 s34, s8, 1
	s_addc_u32 s35, s9, 0
	v_mov_b32_e32 v1, s34
	v_mov_b32_e32 v2, s35
	v_cmp_lt_u64_e32 vcc, s[6:7], v[1:2]
	s_cbranch_vccnz .LBB0_2
; %bb.1:
	v_cvt_f32_u32_e32 v1, s34
	s_sub_i32 s8, 0, s34
	s_mov_b32 s25, s7
	v_rcp_iflag_f32_e32 v1, v1
	v_mul_f32_e32 v1, 0x4f7ffffe, v1
	v_cvt_u32_f32_e32 v1, v1
	v_readfirstlane_b32 s9, v1
	s_mul_i32 s8, s8, s9
	s_mul_hi_u32 s8, s9, s8
	s_add_i32 s9, s9, s8
	s_mul_hi_u32 s8, s6, s9
	s_mul_i32 s10, s8, s34
	s_sub_i32 s10, s6, s10
	s_add_i32 s9, s8, 1
	s_sub_i32 s11, s10, s34
	s_cmp_ge_u32 s10, s34
	s_cselect_b32 s8, s9, s8
	s_cselect_b32 s10, s11, s10
	s_add_i32 s9, s8, 1
	s_cmp_ge_u32 s10, s34
	s_cselect_b32 s24, s9, s8
.LBB0_2:
	s_mul_i32 s16, s24, s35
	s_mul_hi_u32 s17, s24, s34
	s_load_dwordx4 s[12:15], s[4:5], 0x60
	s_load_dwordx4 s[20:23], s[2:3], 0x0
	;; [unrolled: 1-line block ×3, first 2 shown]
	s_add_i32 s17, s17, s16
	s_mul_i32 s16, s24, s34
	s_sub_u32 s36, s6, s16
	s_subb_u32 s37, 0, s17
	v_mov_b32_e32 v1, s36
	v_alignbit_b32 v1, s37, v1, 28
	s_waitcnt lgkmcnt(0)
	v_mul_lo_u32 v2, s22, v1
	s_load_dwordx2 s[26:27], s[4:5], 0x0
	s_load_dwordx4 s[16:19], s[4:5], 0x8
	s_lshl_b64 s[4:5], s[36:37], 4
	s_mul_hi_u32 s33, s22, s4
	v_mul_lo_u32 v1, s10, v1
	v_add_u32_e32 v2, s33, v2
	s_mul_i32 s33, s23, s4
	v_add_u32_e32 v3, s33, v2
	s_mul_i32 s33, s22, s4
	v_mov_b32_e32 v4, s33
	s_mul_hi_u32 s33, s10, s4
	v_add_u32_e32 v1, s33, v1
	s_mul_i32 s33, s11, s4
	s_waitcnt lgkmcnt(0)
	v_cmp_lt_u64_e64 s[36:37], s[18:19], 3
	v_add_u32_e32 v6, s33, v1
	s_mul_i32 s33, s10, s4
	v_mov_b32_e32 v5, s33
	s_and_b64 vcc, exec, s[36:37]
	s_cbranch_vccnz .LBB0_11
; %bb.3:
	s_add_u32 s36, s30, 16
	s_addc_u32 s37, s31, 0
	s_add_u32 s38, s2, 16
	s_addc_u32 s39, s3, 0
	s_add_u32 s40, s0, 16
	v_mov_b32_e32 v1, s18
	s_addc_u32 s41, s1, 0
	s_mov_b64 s[42:43], 2
	s_mov_b32 s44, 0
	v_mov_b32_e32 v2, s19
	s_branch .LBB0_5
.LBB0_4:                                ;   in Loop: Header=BB0_5 Depth=1
	s_mul_i32 s33, s46, s35
	s_mul_hi_u32 s35, s46, s34
	s_add_i32 s33, s35, s33
	s_mul_i32 s35, s47, s34
	s_add_i32 s35, s33, s35
	s_mul_i32 s33, s0, s47
	s_mul_hi_u32 s45, s0, s46
	s_load_dwordx2 s[48:49], s[38:39], 0x0
	s_add_i32 s33, s45, s33
	s_mul_i32 s45, s1, s46
	s_add_i32 s33, s33, s45
	s_mul_i32 s45, s0, s46
	s_sub_u32 s45, s24, s45
	s_subb_u32 s33, s25, s33
	s_waitcnt lgkmcnt(0)
	s_mul_i32 s24, s48, s33
	s_mul_hi_u32 s25, s48, s45
	s_add_i32 s24, s25, s24
	s_mul_i32 s25, s49, s45
	s_add_i32 s24, s24, s25
	v_mov_b32_e32 v7, s24
	s_load_dwordx2 s[24:25], s[36:37], 0x0
	s_mul_i32 s34, s46, s34
	s_mul_i32 s46, s48, s45
	v_add_co_u32_e32 v4, vcc, s46, v4
	s_waitcnt lgkmcnt(0)
	s_mul_i32 s33, s24, s33
	s_mul_hi_u32 s46, s24, s45
	s_add_i32 s33, s46, s33
	s_mul_i32 s25, s25, s45
	s_add_i32 s25, s33, s25
	s_add_u32 s42, s42, 1
	s_addc_u32 s43, s43, 0
	v_addc_co_u32_e32 v3, vcc, v7, v3, vcc
	s_mul_i32 s24, s24, s45
	s_add_u32 s36, s36, 8
	v_mov_b32_e32 v7, s25
	v_add_co_u32_e32 v5, vcc, s24, v5
	s_addc_u32 s37, s37, 0
	v_addc_co_u32_e32 v6, vcc, v7, v6, vcc
	s_add_u32 s38, s38, 8
	s_addc_u32 s39, s39, 0
	v_cmp_ge_u64_e32 vcc, s[42:43], v[1:2]
	s_add_u32 s40, s40, 8
	s_addc_u32 s41, s41, 0
	s_mov_b64 s[24:25], s[0:1]
	s_cbranch_vccnz .LBB0_9
.LBB0_5:                                ; =>This Inner Loop Header: Depth=1
	s_load_dwordx2 s[46:47], s[40:41], 0x0
	s_waitcnt lgkmcnt(0)
	s_or_b64 s[0:1], s[24:25], s[46:47]
	s_mov_b32 s45, s1
	s_cmp_lg_u64 s[44:45], 0
	s_cbranch_scc0 .LBB0_7
; %bb.6:                                ;   in Loop: Header=BB0_5 Depth=1
	v_cvt_f32_u32_e32 v7, s46
	v_cvt_f32_u32_e32 v8, s47
	s_sub_u32 s0, 0, s46
	s_subb_u32 s1, 0, s47
	v_mac_f32_e32 v7, 0x4f800000, v8
	v_rcp_f32_e32 v7, v7
	v_mul_f32_e32 v7, 0x5f7ffffc, v7
	v_mul_f32_e32 v8, 0x2f800000, v7
	v_trunc_f32_e32 v8, v8
	v_mac_f32_e32 v7, 0xcf800000, v8
	v_cvt_u32_f32_e32 v8, v8
	v_cvt_u32_f32_e32 v7, v7
	v_readfirstlane_b32 s33, v8
	v_readfirstlane_b32 s45, v7
	s_mul_i32 s48, s0, s33
	s_mul_hi_u32 s50, s0, s45
	s_mul_i32 s49, s1, s45
	s_add_i32 s48, s50, s48
	s_mul_i32 s51, s0, s45
	s_add_i32 s48, s48, s49
	s_mul_hi_u32 s49, s45, s48
	s_mul_i32 s50, s45, s48
	s_mul_hi_u32 s45, s45, s51
	s_add_u32 s45, s45, s50
	s_addc_u32 s49, 0, s49
	s_mul_hi_u32 s52, s33, s51
	s_mul_i32 s51, s33, s51
	s_add_u32 s45, s45, s51
	s_mul_hi_u32 s50, s33, s48
	s_addc_u32 s45, s49, s52
	s_addc_u32 s49, s50, 0
	s_mul_i32 s48, s33, s48
	s_add_u32 s45, s45, s48
	s_addc_u32 s48, 0, s49
	v_add_co_u32_e32 v7, vcc, s45, v7
	s_cmp_lg_u64 vcc, 0
	s_addc_u32 s33, s33, s48
	v_readfirstlane_b32 s48, v7
	s_mul_i32 s45, s0, s33
	s_mul_hi_u32 s49, s0, s48
	s_add_i32 s45, s49, s45
	s_mul_i32 s1, s1, s48
	s_add_i32 s45, s45, s1
	s_mul_i32 s0, s0, s48
	s_mul_hi_u32 s49, s33, s0
	s_mul_i32 s50, s33, s0
	s_mul_i32 s52, s48, s45
	s_mul_hi_u32 s0, s48, s0
	s_mul_hi_u32 s51, s48, s45
	s_add_u32 s0, s0, s52
	s_addc_u32 s48, 0, s51
	s_add_u32 s0, s0, s50
	s_mul_hi_u32 s1, s33, s45
	s_addc_u32 s0, s48, s49
	s_addc_u32 s1, s1, 0
	s_mul_i32 s45, s33, s45
	s_add_u32 s0, s0, s45
	s_addc_u32 s1, 0, s1
	v_add_co_u32_e32 v7, vcc, s0, v7
	s_cmp_lg_u64 vcc, 0
	s_addc_u32 s0, s33, s1
	v_readfirstlane_b32 s45, v7
	s_mul_i32 s33, s24, s0
	s_mul_hi_u32 s48, s24, s45
	s_mul_hi_u32 s1, s24, s0
	s_add_u32 s33, s48, s33
	s_addc_u32 s1, 0, s1
	s_mul_hi_u32 s49, s25, s45
	s_mul_i32 s45, s25, s45
	s_add_u32 s33, s33, s45
	s_mul_hi_u32 s48, s25, s0
	s_addc_u32 s1, s1, s49
	s_addc_u32 s33, s48, 0
	s_mul_i32 s0, s25, s0
	s_add_u32 s45, s1, s0
	s_addc_u32 s33, 0, s33
	s_mul_i32 s0, s46, s33
	s_mul_hi_u32 s1, s46, s45
	s_add_i32 s0, s1, s0
	s_mul_i32 s1, s47, s45
	s_add_i32 s48, s0, s1
	s_mul_i32 s1, s46, s45
	v_mov_b32_e32 v7, s1
	s_sub_i32 s0, s25, s48
	v_sub_co_u32_e32 v7, vcc, s24, v7
	s_cmp_lg_u64 vcc, 0
	s_subb_u32 s49, s0, s47
	v_subrev_co_u32_e64 v8, s[0:1], s46, v7
	s_cmp_lg_u64 s[0:1], 0
	s_subb_u32 s0, s49, 0
	s_cmp_ge_u32 s0, s47
	v_readfirstlane_b32 s49, v8
	s_cselect_b32 s1, -1, 0
	s_cmp_ge_u32 s49, s46
	s_cselect_b32 s49, -1, 0
	s_cmp_eq_u32 s0, s47
	s_cselect_b32 s0, s49, s1
	s_add_u32 s1, s45, 1
	s_addc_u32 s49, s33, 0
	s_add_u32 s50, s45, 2
	s_addc_u32 s51, s33, 0
	s_cmp_lg_u32 s0, 0
	s_cselect_b32 s0, s50, s1
	s_cselect_b32 s1, s51, s49
	s_cmp_lg_u64 vcc, 0
	s_subb_u32 s48, s25, s48
	s_cmp_ge_u32 s48, s47
	v_readfirstlane_b32 s50, v7
	s_cselect_b32 s49, -1, 0
	s_cmp_ge_u32 s50, s46
	s_cselect_b32 s50, -1, 0
	s_cmp_eq_u32 s48, s47
	s_cselect_b32 s48, s50, s49
	s_cmp_lg_u32 s48, 0
	s_cselect_b32 s1, s1, s33
	s_cselect_b32 s0, s0, s45
	s_cbranch_execnz .LBB0_4
	s_branch .LBB0_8
.LBB0_7:                                ;   in Loop: Header=BB0_5 Depth=1
                                        ; implicit-def: $sgpr0_sgpr1
.LBB0_8:                                ;   in Loop: Header=BB0_5 Depth=1
	v_cvt_f32_u32_e32 v7, s46
	s_sub_i32 s0, 0, s46
	v_rcp_iflag_f32_e32 v7, v7
	v_mul_f32_e32 v7, 0x4f7ffffe, v7
	v_cvt_u32_f32_e32 v7, v7
	v_readfirstlane_b32 s1, v7
	s_mul_i32 s0, s0, s1
	s_mul_hi_u32 s0, s1, s0
	s_add_i32 s1, s1, s0
	s_mul_hi_u32 s0, s24, s1
	s_mul_i32 s33, s0, s46
	s_sub_i32 s33, s24, s33
	s_add_i32 s1, s0, 1
	s_sub_i32 s45, s33, s46
	s_cmp_ge_u32 s33, s46
	s_cselect_b32 s0, s1, s0
	s_cselect_b32 s33, s45, s33
	s_add_i32 s1, s0, 1
	s_cmp_ge_u32 s33, s46
	s_cselect_b32 s0, s1, s0
	s_mov_b32 s1, s44
	s_branch .LBB0_4
.LBB0_9:
	v_mov_b32_e32 v1, s34
	v_mov_b32_e32 v2, s35
	v_cmp_lt_u64_e32 vcc, s[6:7], v[1:2]
	s_mov_b64 s[24:25], 0
	s_cbranch_vccnz .LBB0_11
; %bb.10:
	v_cvt_f32_u32_e32 v1, s34
	s_sub_i32 s0, 0, s34
	v_rcp_iflag_f32_e32 v1, v1
	v_mul_f32_e32 v1, 0x4f7ffffe, v1
	v_cvt_u32_f32_e32 v1, v1
	v_readfirstlane_b32 s1, v1
	s_mul_i32 s0, s0, s1
	s_mul_hi_u32 s0, s1, s0
	s_add_i32 s1, s1, s0
	s_mul_hi_u32 s0, s6, s1
	s_mul_i32 s7, s0, s34
	s_sub_i32 s6, s6, s7
	s_add_i32 s1, s0, 1
	s_sub_i32 s7, s6, s34
	s_cmp_ge_u32 s6, s34
	s_cselect_b32 s0, s1, s0
	s_cselect_b32 s6, s7, s6
	s_add_i32 s1, s0, 1
	s_cmp_ge_u32 s6, s34
	s_cselect_b32 s24, s1, s0
.LBB0_11:
	s_lshl_b64 s[0:1], s[18:19], 3
	s_add_u32 s2, s2, s0
	s_addc_u32 s3, s3, s1
	s_load_dwordx2 s[2:3], s[2:3], 0x0
	v_lshrrev_b32_e32 v28, 4, v0
	v_and_b32_e32 v27, 15, v0
	v_or_b32_e32 v36, 8, v28
	v_or_b32_e32 v35, 16, v28
	s_waitcnt lgkmcnt(0)
	s_mul_i32 s3, s3, s24
	s_mul_hi_u32 s6, s2, s24
	s_add_i32 s3, s6, s3
	s_mul_i32 s2, s2, s24
	s_add_u32 s6, s30, s0
	v_mov_b32_e32 v2, s3
	v_add_co_u32_e32 v1, vcc, s2, v4
	s_addc_u32 s7, s31, s1
	v_addc_co_u32_e32 v2, vcc, v2, v3, vcc
	s_add_u32 s0, s4, 16
	v_mov_b32_e32 v3, s28
	s_addc_u32 s1, s5, 0
	v_mov_b32_e32 v4, s29
	v_cmp_le_u64_e32 vcc, s[0:1], v[3:4]
	s_movk_i32 s0, 0x80
	v_cmp_gt_u32_e64 s[2:3], s0, v0
	v_lshlrev_b64 v[25:26], 3, v[1:2]
	s_and_b64 s[0:1], s[2:3], vcc
	v_or_b32_e32 v34, 24, v28
	v_or_b32_e32 v33, 32, v28
	;; [unrolled: 1-line block ×6, first 2 shown]
                                        ; implicit-def: $vgpr2
                                        ; implicit-def: $vgpr10
                                        ; implicit-def: $vgpr4
                                        ; implicit-def: $vgpr12
                                        ; implicit-def: $vgpr18
                                        ; implicit-def: $vgpr14
                                        ; implicit-def: $vgpr20
                                        ; implicit-def: $vgpr22
                                        ; implicit-def: $vgpr24
                                        ; implicit-def: $vgpr16
	s_and_saveexec_b64 s[18:19], s[0:1]
	s_cbranch_execz .LBB0_13
; %bb.12:
	v_mad_u64_u32 v[1:2], s[0:1], s22, v27, 0
	v_mad_u64_u32 v[3:4], s[0:1], s20, v28, 0
	v_mad_u64_u32 v[7:8], s[0:1], s23, v27, v[2:3]
	v_mov_b32_e32 v2, v4
	v_mad_u64_u32 v[8:9], s[0:1], s21, v28, v[2:3]
	v_mov_b32_e32 v2, v7
	v_mov_b32_e32 v7, s13
	v_add_co_u32_e64 v9, s[0:1], s12, v25
	v_mov_b32_e32 v4, v8
	v_addc_co_u32_e64 v10, s[0:1], v7, v26, s[0:1]
	v_mad_u64_u32 v[7:8], s[0:1], s20, v36, 0
	v_lshlrev_b64 v[1:2], 3, v[1:2]
	v_add_co_u32_e64 v11, s[0:1], v9, v1
	v_addc_co_u32_e64 v12, s[0:1], v10, v2, s[0:1]
	v_lshlrev_b64 v[1:2], 3, v[3:4]
	v_mov_b32_e32 v3, v8
	v_mad_u64_u32 v[3:4], s[0:1], s21, v36, v[3:4]
	v_mad_u64_u32 v[9:10], s[0:1], s20, v35, 0
	v_add_co_u32_e64 v37, s[0:1], v11, v1
	v_mov_b32_e32 v8, v3
	v_mov_b32_e32 v3, v10
	v_addc_co_u32_e64 v38, s[0:1], v12, v2, s[0:1]
	v_lshlrev_b64 v[1:2], 3, v[7:8]
	v_mad_u64_u32 v[3:4], s[0:1], s21, v35, v[3:4]
	v_mad_u64_u32 v[7:8], s[0:1], s20, v34, 0
	v_add_co_u32_e64 v39, s[0:1], v11, v1
	v_mov_b32_e32 v10, v3
	v_mov_b32_e32 v3, v8
	v_addc_co_u32_e64 v40, s[0:1], v12, v2, s[0:1]
	v_lshlrev_b64 v[1:2], 3, v[9:10]
	;; [unrolled: 7-line block ×6, first 2 shown]
	v_mad_u64_u32 v[3:4], s[0:1], s21, v30, v[3:4]
	v_mad_u64_u32 v[9:10], s[0:1], s20, v29, 0
	v_add_co_u32_e64 v49, s[0:1], v11, v1
	v_mov_b32_e32 v8, v3
	v_mov_b32_e32 v3, v10
	v_addc_co_u32_e64 v50, s[0:1], v12, v2, s[0:1]
	v_mad_u64_u32 v[3:4], s[0:1], s21, v29, v[3:4]
	v_or_b32_e32 v4, 0x48, v28
	v_lshlrev_b64 v[1:2], 3, v[7:8]
	v_mad_u64_u32 v[7:8], s[0:1], s20, v4, 0
	v_add_co_u32_e64 v51, s[0:1], v11, v1
	v_mov_b32_e32 v10, v3
	v_mov_b32_e32 v3, v8
	v_addc_co_u32_e64 v52, s[0:1], v12, v2, s[0:1]
	v_mad_u64_u32 v[3:4], s[0:1], s21, v4, v[3:4]
	v_lshlrev_b64 v[1:2], 3, v[9:10]
	v_add_co_u32_e64 v53, s[0:1], v11, v1
	v_mov_b32_e32 v8, v3
	v_addc_co_u32_e64 v54, s[0:1], v12, v2, s[0:1]
	v_lshlrev_b64 v[1:2], 3, v[7:8]
	v_add_co_u32_e64 v7, s[0:1], v11, v1
	v_addc_co_u32_e64 v8, s[0:1], v12, v2, s[0:1]
	global_load_dwordx2 v[1:2], v[37:38], off
	global_load_dwordx2 v[9:10], v[39:40], off
	;; [unrolled: 1-line block ×10, first 2 shown]
.LBB0_13:
	s_or_b64 exec, exec, s[18:19]
	v_mov_b32_e32 v8, s5
	v_or_b32_e32 v7, s4, v27
	v_cmp_gt_u64_e64 s[0:1], s[28:29], v[7:8]
	s_xor_b64 s[4:5], vcc, -1
	s_and_b64 s[18:19], s[2:3], s[0:1]
	s_and_b64 s[4:5], s[4:5], s[18:19]
	s_and_saveexec_b64 s[18:19], s[4:5]
	s_cbranch_execz .LBB0_15
; %bb.14:
	s_waitcnt vmcnt(9)
	v_mad_u64_u32 v[1:2], s[4:5], s22, v27, 0
	s_waitcnt vmcnt(7)
	v_mad_u64_u32 v[3:4], s[4:5], s20, v28, 0
	v_mad_u64_u32 v[8:9], s[4:5], s23, v27, v[2:3]
	v_mov_b32_e32 v2, v4
	v_mad_u64_u32 v[9:10], s[4:5], s21, v28, v[2:3]
	v_mov_b32_e32 v2, v8
	v_mov_b32_e32 v8, s13
	v_add_co_u32_e64 v10, s[4:5], s12, v25
	v_mov_b32_e32 v4, v9
	s_waitcnt vmcnt(6)
	v_addc_co_u32_e64 v11, s[4:5], v8, v26, s[4:5]
	v_mad_u64_u32 v[8:9], s[4:5], s20, v36, 0
	v_lshlrev_b64 v[1:2], 3, v[1:2]
	v_add_co_u32_e64 v37, s[4:5], v10, v1
	v_addc_co_u32_e64 v38, s[4:5], v11, v2, s[4:5]
	v_lshlrev_b64 v[1:2], 3, v[3:4]
	v_mov_b32_e32 v3, v9
	v_mad_u64_u32 v[3:4], s[4:5], s21, v36, v[3:4]
	v_mad_u64_u32 v[10:11], s[4:5], s20, v35, 0
	s_waitcnt vmcnt(4)
	v_add_co_u32_e64 v13, s[4:5], v37, v1
	v_mov_b32_e32 v9, v3
	v_mov_b32_e32 v3, v11
	v_addc_co_u32_e64 v14, s[4:5], v38, v2, s[4:5]
	v_lshlrev_b64 v[1:2], 3, v[8:9]
	v_mad_u64_u32 v[3:4], s[4:5], s21, v35, v[3:4]
	v_mad_u64_u32 v[8:9], s[4:5], s20, v34, 0
	s_waitcnt vmcnt(2)
	v_add_co_u32_e64 v15, s[4:5], v37, v1
	v_mov_b32_e32 v11, v3
	v_mov_b32_e32 v3, v9
	v_addc_co_u32_e64 v16, s[4:5], v38, v2, s[4:5]
	v_lshlrev_b64 v[1:2], 3, v[10:11]
	v_mad_u64_u32 v[3:4], s[4:5], s21, v34, v[3:4]
	v_add_co_u32_e64 v17, s[4:5], v37, v1
	v_addc_co_u32_e64 v18, s[4:5], v38, v2, s[4:5]
	v_mad_u64_u32 v[19:20], s[4:5], s20, v33, 0
	v_mov_b32_e32 v9, v3
	v_lshlrev_b64 v[1:2], 3, v[8:9]
	s_waitcnt vmcnt(0)
	v_add_co_u32_e64 v21, s[4:5], v37, v1
	v_mov_b32_e32 v1, v20
	v_addc_co_u32_e64 v22, s[4:5], v38, v2, s[4:5]
	v_mad_u64_u32 v[8:9], s[4:5], s21, v33, v[1:2]
	global_load_dwordx2 v[1:2], v[13:14], off
	global_load_dwordx2 v[9:10], v[15:16], off
	;; [unrolled: 1-line block ×4, first 2 shown]
	v_mad_u64_u32 v[23:24], s[4:5], s20, v32, 0
	v_mov_b32_e32 v20, v8
	v_lshlrev_b64 v[13:14], 3, v[19:20]
	v_mov_b32_e32 v8, v24
	s_waitcnt vmcnt(2)
	v_mad_u64_u32 v[15:16], s[4:5], s21, v32, v[8:9]
	v_mad_u64_u32 v[16:17], s[4:5], s20, v31, 0
	v_add_co_u32_e64 v21, s[4:5], v37, v13
	v_mov_b32_e32 v8, v17
	v_addc_co_u32_e64 v22, s[4:5], v38, v14, s[4:5]
	v_mad_u64_u32 v[17:18], s[4:5], s21, v31, v[8:9]
	v_mad_u64_u32 v[18:19], s[4:5], s20, v30, 0
	v_mov_b32_e32 v24, v15
	v_lshlrev_b64 v[13:14], 3, v[23:24]
	v_mov_b32_e32 v8, v19
	v_add_co_u32_e64 v23, s[4:5], v37, v13
	v_addc_co_u32_e64 v24, s[4:5], v38, v14, s[4:5]
	v_lshlrev_b64 v[13:14], 3, v[16:17]
	v_mad_u64_u32 v[15:16], s[4:5], s21, v30, v[8:9]
	v_add_co_u32_e64 v25, s[4:5], v37, v13
	v_addc_co_u32_e64 v26, s[4:5], v38, v14, s[4:5]
	v_mad_u64_u32 v[30:31], s[4:5], s20, v29, 0
	v_mov_b32_e32 v19, v15
	v_lshlrev_b64 v[13:14], 3, v[18:19]
	v_mov_b32_e32 v8, v31
	v_add_co_u32_e64 v32, s[4:5], v37, v13
	v_addc_co_u32_e64 v33, s[4:5], v38, v14, s[4:5]
	v_mad_u64_u32 v[34:35], s[4:5], s21, v29, v[8:9]
	v_or_b32_e32 v29, 0x48, v28
	v_mad_u64_u32 v[35:36], s[4:5], s20, v29, 0
	global_load_dwordx2 v[17:18], v[21:22], off
	global_load_dwordx2 v[13:14], v[23:24], off
	;; [unrolled: 1-line block ×4, first 2 shown]
	v_mov_b32_e32 v31, v34
	v_mov_b32_e32 v8, v36
	v_mad_u64_u32 v[23:24], s[4:5], s21, v29, v[8:9]
	v_lshlrev_b64 v[21:22], 3, v[30:31]
	v_add_co_u32_e64 v25, s[4:5], v37, v21
	v_mov_b32_e32 v36, v23
	v_addc_co_u32_e64 v26, s[4:5], v38, v22, s[4:5]
	v_lshlrev_b64 v[21:22], 3, v[35:36]
	v_add_co_u32_e64 v29, s[4:5], v37, v21
	v_addc_co_u32_e64 v30, s[4:5], v38, v22, s[4:5]
	global_load_dwordx2 v[23:24], v[25:26], off
	global_load_dwordx2 v[21:22], v[29:30], off
.LBB0_15:
	s_or_b64 exec, exec, s[18:19]
	v_lshlrev_b32_e32 v25, 3, v27
	s_and_saveexec_b64 s[4:5], s[2:3]
	s_cbranch_execz .LBB0_17
; %bb.16:
	s_waitcnt vmcnt(5)
	v_sub_f32_e32 v35, v18, v4
	s_waitcnt vmcnt(1)
	v_sub_f32_e32 v36, v20, v24
	v_add_f32_e32 v35, v35, v36
	v_add_f32_e32 v36, v4, v24
	v_sub_f32_e32 v8, v4, v18
	v_sub_f32_e32 v26, v24, v20
	v_fma_f32 v36, -0.5, v36, v2
	v_sub_f32_e32 v38, v13, v11
	s_waitcnt vmcnt(0)
	v_sub_f32_e32 v39, v15, v21
	v_add_f32_e32 v8, v8, v26
	v_sub_f32_e32 v26, v17, v19
	v_mov_b32_e32 v37, v36
	v_add_f32_e32 v38, v38, v39
	v_sub_f32_e32 v39, v14, v12
	v_sub_f32_e32 v40, v16, v22
	;; [unrolled: 1-line block ×3, first 2 shown]
	v_fmac_f32_e32 v37, 0xbf737871, v26
	v_add_f32_e32 v39, v39, v40
	v_add_f32_e32 v40, v12, v22
	v_fmac_f32_e32 v36, 0x3f737871, v26
	v_sub_f32_e32 v32, v12, v14
	v_sub_f32_e32 v33, v22, v16
	v_fmac_f32_e32 v37, 0x3f167918, v29
	v_fma_f32 v40, -0.5, v40, v10
	v_fmac_f32_e32 v36, 0xbf167918, v29
	v_add_f32_e32 v32, v32, v33
	v_sub_f32_e32 v33, v13, v15
	v_fmac_f32_e32 v37, 0x3e9e377a, v35
	v_fmac_f32_e32 v36, 0x3e9e377a, v35
	v_mov_b32_e32 v35, v40
	v_sub_f32_e32 v34, v11, v21
	v_fmac_f32_e32 v35, 0xbf737871, v33
	v_fmac_f32_e32 v40, 0x3f737871, v33
	;; [unrolled: 1-line block ×6, first 2 shown]
	v_add_f32_e32 v39, v11, v21
	v_sub_f32_e32 v30, v11, v13
	v_sub_f32_e32 v31, v21, v15
	v_fma_f32 v39, -0.5, v39, v9
	v_add_f32_e32 v30, v30, v31
	v_sub_f32_e32 v31, v14, v16
	v_mov_b32_e32 v41, v39
	v_fmac_f32_e32 v41, 0x3f737871, v31
	v_sub_f32_e32 v42, v12, v22
	v_fmac_f32_e32 v39, 0xbf737871, v31
	v_fmac_f32_e32 v41, 0xbf167918, v42
	;; [unrolled: 1-line block ×5, first 2 shown]
	v_add_f32_e32 v38, v18, v20
	v_fma_f32 v38, -0.5, v38, v2
	v_mov_b32_e32 v43, v38
	v_fmac_f32_e32 v43, 0x3f737871, v29
	v_fmac_f32_e32 v38, 0xbf737871, v29
	v_fmac_f32_e32 v43, 0x3f167918, v26
	v_fmac_f32_e32 v38, 0xbf167918, v26
	v_fmac_f32_e32 v43, 0x3e9e377a, v8
	v_fmac_f32_e32 v38, 0x3e9e377a, v8
	v_add_f32_e32 v8, v14, v16
	v_fma_f32 v8, -0.5, v8, v10
	v_mov_b32_e32 v26, v8
	v_fmac_f32_e32 v26, 0x3f737871, v34
	v_fmac_f32_e32 v8, 0xbf737871, v34
	v_add_f32_e32 v29, v13, v15
	v_fmac_f32_e32 v26, 0x3f167918, v33
	v_fmac_f32_e32 v8, 0xbf167918, v33
	v_fma_f32 v29, -0.5, v29, v9
	v_fmac_f32_e32 v26, 0x3e9e377a, v32
	v_fmac_f32_e32 v8, 0x3e9e377a, v32
	v_mov_b32_e32 v32, v29
	v_fmac_f32_e32 v32, 0xbf737871, v42
	v_fmac_f32_e32 v29, 0x3f737871, v42
	;; [unrolled: 1-line block ×3, first 2 shown]
	v_add_f32_e32 v10, v10, v12
	v_add_f32_e32 v12, v9, v11
	;; [unrolled: 1-line block ×3, first 2 shown]
	v_sub_f32_e32 v2, v3, v17
	v_sub_f32_e32 v11, v23, v19
	v_fmac_f32_e32 v32, 0x3e9e377a, v30
	v_fmac_f32_e32 v29, 0x3f167918, v31
	v_add_f32_e32 v2, v2, v11
	v_add_f32_e32 v11, v17, v19
	s_mov_b32 s3, 0x3f167918
	v_fmac_f32_e32 v29, 0x3e9e377a, v30
	v_fma_f32 v30, -0.5, v11, v1
	v_mul_f32_e32 v11, 0x3f4f1bbd, v32
	s_mov_b32 s13, 0xbf167918
	v_mul_f32_e32 v31, 0x3f4f1bbd, v26
	v_fma_f32 v26, v26, s3, -v11
	v_add_f32_e32 v11, v3, v23
	v_fma_f32 v31, v32, s13, -v31
	v_fma_f32 v32, -0.5, v11, v1
	v_add_f32_e32 v1, v1, v3
	v_sub_f32_e32 v3, v17, v3
	v_sub_f32_e32 v11, v19, v23
	s_mov_b32 s12, 0xbf737871
	v_add_f32_e32 v3, v3, v11
	v_mul_f32_e32 v11, 0x3e9e377a, v35
	s_mov_b32 s2, 0x3f737871
	v_fma_f32 v33, v41, s12, -v11
	v_mul_f32_e32 v11, 0x3e9e377a, v41
	v_fma_f32 v34, v35, s2, -v11
	v_sub_f32_e32 v11, v18, v20
	v_mov_b32_e32 v35, v32
	v_sub_f32_e32 v4, v4, v24
	v_fmac_f32_e32 v35, 0x3f737871, v11
	v_fmac_f32_e32 v32, 0xbf737871, v11
	;; [unrolled: 1-line block ×6, first 2 shown]
	v_add_f32_e32 v3, v9, v18
	v_add_f32_e32 v1, v1, v17
	;; [unrolled: 1-line block ×4, first 2 shown]
	v_mul_f32_e32 v41, 0xbf737871, v39
	v_add_f32_e32 v18, v3, v24
	v_add_f32_e32 v24, v1, v23
	;; [unrolled: 1-line block ×4, first 2 shown]
	v_fmac_f32_e32 v41, 0x3e9e377a, v40
	v_mul_f32_e32 v40, 0x3f737871, v40
	v_add_f32_e32 v1, v1, v16
	v_add_f32_e32 v12, v12, v15
	v_fmac_f32_e32 v40, 0x3e9e377a, v39
	v_mov_b32_e32 v39, v30
	v_fmac_f32_e32 v30, 0x3f737871, v4
	v_add_f32_e32 v14, v22, v1
	v_add_f32_e32 v22, v21, v12
	v_fmac_f32_e32 v39, 0xbf737871, v4
	v_fmac_f32_e32 v30, 0x3f167918, v11
	v_mul_f32_e32 v42, 0xbf167918, v29
	v_mul_f32_e32 v29, 0x3f4f1bbd, v29
	v_sub_f32_e32 v12, v24, v22
	v_add_f32_e32 v22, v24, v22
	v_mul_u32_u24_e32 v24, 0xa0, v28
	v_fmac_f32_e32 v39, 0xbf167918, v11
	v_fmac_f32_e32 v42, 0x3f4f1bbd, v8
	;; [unrolled: 1-line block ×4, first 2 shown]
	v_lshlrev_b32_e32 v24, 3, v24
	v_fmac_f32_e32 v39, 0x3e9e377a, v2
	v_add_f32_e32 v21, v38, v42
	v_add_f32_e32 v23, v18, v14
	;; [unrolled: 1-line block ×3, first 2 shown]
	v_add3_u32 v24, 0, v24, v25
	v_sub_f32_e32 v2, v43, v31
	v_sub_f32_e32 v4, v37, v33
	;; [unrolled: 1-line block ×9, first 2 shown]
	v_add_f32_e32 v15, v43, v31
	v_add_f32_e32 v17, v37, v33
	;; [unrolled: 1-line block ×6, first 2 shown]
	ds_write2_b64 v24, v[22:23], v[20:21] offset1:16
	ds_write2_b64 v24, v[18:19], v[16:17] offset0:32 offset1:48
	ds_write2_b64 v24, v[14:15], v[12:13] offset0:64 offset1:80
	;; [unrolled: 1-line block ×4, first 2 shown]
.LBB0_17:
	s_or_b64 exec, exec, s[4:5]
	s_or_b64 s[0:1], vcc, s[0:1]
	s_waitcnt vmcnt(0) lgkmcnt(0)
	s_barrier
	s_and_saveexec_b64 s[2:3], s[0:1]
	s_cbranch_execz .LBB0_19
; %bb.18:
	v_mul_lo_u16_e32 v1, 26, v28
	v_mov_b32_e32 v2, 10
	v_mul_lo_u16_sdwa v1, v1, v2 dst_sel:DWORD dst_unused:UNUSED_PAD src0_sel:BYTE_1 src1_sel:DWORD
	v_sub_u16_e32 v1, v28, v1
	v_and_b32_e32 v8, 0xff, v1
	v_mul_u32_u24_e32 v1, 7, v8
	v_lshlrev_b32_e32 v9, 3, v1
	global_load_dwordx2 v[29:30], v9, s[26:27] offset:48
	global_load_dwordx4 v[10:13], v9, s[26:27] offset:32
	global_load_dwordx4 v[1:4], v9, s[26:27] offset:16
	global_load_dwordx4 v[14:17], v9, s[26:27]
	v_add_u32_e32 v9, 60, v8
	v_mul_lo_u32 v26, v7, v9
	v_add_u32_e32 v18, 0x46, v8
	v_mul_lo_u32 v39, v7, v18
	v_mov_b32_e32 v9, 3
	v_lshlrev_b32_sdwa v18, v9, v26 dst_sel:DWORD dst_unused:UNUSED_PAD src0_sel:DWORD src1_sel:BYTE_0
	v_lshlrev_b32_sdwa v19, v9, v26 dst_sel:DWORD dst_unused:UNUSED_PAD src0_sel:DWORD src1_sel:BYTE_1
	global_load_dwordx2 v[31:32], v18, s[16:17]
	global_load_dwordx2 v[33:34], v19, s[16:17] offset:2048
	v_lshlrev_b32_sdwa v18, v9, v39 dst_sel:DWORD dst_unused:UNUSED_PAD src0_sel:DWORD src1_sel:BYTE_0
	v_lshlrev_b32_sdwa v19, v9, v39 dst_sel:DWORD dst_unused:UNUSED_PAD src0_sel:DWORD src1_sel:BYTE_1
	global_load_dwordx2 v[35:36], v18, s[16:17]
	global_load_dwordx2 v[37:38], v19, s[16:17] offset:2048
	v_lshlrev_b32_e32 v18, 7, v28
	v_add3_u32 v28, 0, v18, v25
	v_add_u32_e32 v18, 0x1c00, v28
	ds_read2_b64 v[18:21], v18 offset0:64 offset1:224
	v_add_u32_e32 v22, 0x1400, v28
	ds_read2_b64 v[22:25], v22 offset1:160
	v_mov_b32_e32 v40, 0x1000
	v_mul_u32_u24_e32 v0, 0x19a, v0
	v_lshlrev_b64 v[5:6], 3, v[5:6]
	s_waitcnt vmcnt(7) lgkmcnt(1)
	v_mul_f32_e32 v41, v20, v30
	v_mul_f32_e32 v30, v21, v30
	v_fma_f32 v42, v20, v29, -v30
	s_waitcnt vmcnt(6)
	v_mul_f32_e32 v20, v19, v13
	v_mul_f32_e32 v43, v13, v18
	v_fma_f32 v44, v12, v18, -v20
	v_fmac_f32_e32 v43, v19, v12
	v_add_u32_e32 v12, 0x800, v28
	s_waitcnt lgkmcnt(0)
	v_mul_f32_e32 v13, v11, v25
	v_mul_f32_e32 v45, v11, v24
	v_fma_f32 v46, v10, v24, -v13
	v_fmac_f32_e32 v45, v10, v25
	ds_read2_b64 v[10:13], v12 offset0:64 offset1:224
	s_waitcnt vmcnt(5)
	v_mul_f32_e32 v47, v4, v22
	v_mul_f32_e32 v4, v4, v23
	v_fmac_f32_e32 v47, v3, v23
	v_fma_f32 v48, v3, v22, -v4
	s_waitcnt lgkmcnt(0)
	v_mul_f32_e32 v49, v2, v12
	v_mul_f32_e32 v2, v2, v13
	v_fma_f32 v50, v1, v12, -v2
	v_add_u32_e32 v12, 50, v8
	v_fmac_f32_e32 v49, v1, v13
	ds_read2_b64 v[1:4], v28 offset1:160
	v_mul_lo_u32 v12, v7, v12
	s_waitcnt vmcnt(4)
	v_mul_f32_e32 v13, v17, v11
	v_mul_f32_e32 v51, v17, v10
	v_fma_f32 v52, v16, v10, -v13
	v_fmac_f32_e32 v51, v16, v11
	v_lshlrev_b32_sdwa v13, v9, v12 dst_sel:DWORD dst_unused:UNUSED_PAD src0_sel:DWORD src1_sel:BYTE_0
	v_lshlrev_b32_sdwa v16, v9, v12 dst_sel:DWORD dst_unused:UNUSED_PAD src0_sel:DWORD src1_sel:BYTE_1
	v_bfe_u32 v10, v39, 16, 8
	v_bfe_u32 v12, v12, 16, 8
	v_bfe_u32 v11, v26, 16, 8
	v_lshl_or_b32 v17, v10, 3, v40
	v_lshl_or_b32 v12, v12, 3, v40
	s_waitcnt lgkmcnt(0)
	v_mul_f32_e32 v10, v15, v4
	v_mul_f32_e32 v26, v15, v3
	v_lshl_or_b32 v18, v11, 3, v40
	v_fma_f32 v39, v14, v3, -v10
	v_fmac_f32_e32 v26, v14, v4
	global_load_dwordx2 v[3:4], v13, s[16:17]
	global_load_dwordx2 v[10:11], v12, s[16:17]
	s_waitcnt vmcnt(4)
	v_mul_f32_e32 v12, v32, v34
	v_mul_f32_e32 v34, v31, v34
	v_fma_f32 v53, v31, v33, -v12
	global_load_dwordx2 v[12:13], v18, s[16:17]
	global_load_dwordx2 v[14:15], v17, s[16:17]
	s_waitcnt vmcnt(4)
	v_mul_f32_e32 v17, v36, v38
	v_fmac_f32_e32 v34, v32, v33
	v_fma_f32 v33, v35, v37, -v17
	global_load_dwordx2 v[16:17], v16, s[16:17] offset:2048
	v_add_u32_e32 v18, 40, v8
	v_mul_lo_u32 v22, v7, v18
	v_fmac_f32_e32 v41, v21, v29
	v_mul_f32_e32 v32, v35, v38
	v_fmac_f32_e32 v32, v36, v37
	v_lshlrev_b32_sdwa v23, v9, v22 dst_sel:DWORD dst_unused:UNUSED_PAD src0_sel:DWORD src1_sel:BYTE_1
	v_bfe_u32 v18, v22, 16, 8
	v_lshl_or_b32 v24, v18, 3, v40
	global_load_dwordx2 v[18:19], v23, s[16:17] offset:2048
	global_load_dwordx2 v[20:21], v24, s[16:17]
	v_sub_f32_e32 v43, v51, v43
	s_waitcnt vmcnt(2)
	v_mul_f32_e32 v23, v4, v17
	v_fma_f32 v35, v3, v16, -v23
	v_mul_f32_e32 v36, v3, v17
	v_lshlrev_b32_sdwa v3, v9, v22 dst_sel:DWORD dst_unused:UNUSED_PAD src0_sel:DWORD src1_sel:BYTE_0
	v_fmac_f32_e32 v36, v4, v16
	global_load_dwordx2 v[3:4], v3, s[16:17]
	s_waitcnt vmcnt(0)
	v_mul_f32_e32 v16, v4, v19
	v_fma_f32 v37, v3, v18, -v16
	v_mul_f32_e32 v38, v3, v19
	v_add_u32_e32 v3, 30, v8
	v_fmac_f32_e32 v38, v4, v18
	v_mul_lo_u32 v3, v7, v3
	v_add_u32_e32 v4, 20, v8
	v_mul_lo_u32 v24, v7, v4
	v_lshlrev_b32_sdwa v25, v9, v3 dst_sel:DWORD dst_unused:UNUSED_PAD src0_sel:DWORD src1_sel:BYTE_0
	v_lshlrev_b32_sdwa v28, v9, v3 dst_sel:DWORD dst_unused:UNUSED_PAD src0_sel:DWORD src1_sel:BYTE_1
	v_bfe_u32 v3, v3, 16, 8
	v_lshl_or_b32 v29, v3, 3, v40
	v_bfe_u32 v3, v24, 16, 8
	v_lshl_or_b32 v30, v3, 3, v40
	global_load_dwordx2 v[3:4], v25, s[16:17]
	global_load_dwordx2 v[16:17], v28, s[16:17] offset:2048
	global_load_dwordx2 v[18:19], v30, s[16:17]
	global_load_dwordx2 v[22:23], v29, s[16:17]
	v_lshlrev_b32_sdwa v29, v9, v24 dst_sel:DWORD dst_unused:UNUSED_PAD src0_sel:DWORD src1_sel:BYTE_0
	v_lshlrev_b32_sdwa v30, v9, v24 dst_sel:DWORD dst_unused:UNUSED_PAD src0_sel:DWORD src1_sel:BYTE_1
	s_waitcnt vmcnt(2)
	v_mul_f32_e32 v25, v4, v17
	v_fma_f32 v54, v3, v16, -v25
	v_mul_f32_e32 v55, v3, v17
	v_add_u32_e32 v3, 10, v8
	v_mul_lo_u32 v28, v7, v3
	v_fmac_f32_e32 v55, v4, v16
	v_mul_lo_u32 v7, v7, v8
	v_bfe_u32 v3, v28, 16, 8
	v_lshl_or_b32 v31, v3, 3, v40
	global_load_dwordx2 v[3:4], v29, s[16:17]
	global_load_dwordx2 v[16:17], v30, s[16:17] offset:2048
	global_load_dwordx2 v[24:25], v31, s[16:17]
	v_lshlrev_b32_sdwa v58, v9, v7 dst_sel:DWORD dst_unused:UNUSED_PAD src0_sel:DWORD src1_sel:BYTE_1
	s_waitcnt vmcnt(1)
	v_mul_f32_e32 v29, v4, v17
	v_fma_f32 v56, v3, v16, -v29
	v_mul_f32_e32 v57, v3, v17
	v_bfe_u32 v3, v7, 16, 8
	v_lshlrev_b32_sdwa v29, v9, v28 dst_sel:DWORD dst_unused:UNUSED_PAD src0_sel:DWORD src1_sel:BYTE_0
	v_fmac_f32_e32 v57, v4, v16
	v_lshl_or_b32 v40, v3, 3, v40
	v_lshlrev_b32_sdwa v28, v9, v28 dst_sel:DWORD dst_unused:UNUSED_PAD src0_sel:DWORD src1_sel:BYTE_1
	global_load_dwordx2 v[3:4], v29, s[16:17]
	global_load_dwordx2 v[16:17], v28, s[16:17] offset:2048
	s_nop 0
	global_load_dwordx2 v[28:29], v58, s[16:17] offset:2048
	global_load_dwordx2 v[30:31], v40, s[16:17]
	v_lshlrev_b32_sdwa v7, v9, v7 dst_sel:DWORD dst_unused:UNUSED_PAD src0_sel:DWORD src1_sel:BYTE_0
	s_load_dwordx2 s[0:1], s[6:7], 0x0
	s_waitcnt lgkmcnt(0)
	s_mul_i32 s1, s1, s24
	s_mul_hi_u32 s2, s0, s24
	s_add_i32 s1, s2, s1
	s_mul_i32 s0, s0, s24
	s_lshl_b64 s[0:1], s[0:1], 3
	s_add_u32 s0, s14, s0
	s_addc_u32 s1, s15, s1
	s_waitcnt vmcnt(2)
	v_mul_f32_e32 v40, v4, v17
	v_mul_f32_e32 v58, v3, v17
	v_fma_f32 v40, v3, v16, -v40
	v_fmac_f32_e32 v58, v4, v16
	v_mul_f32_e32 v3, v32, v15
	v_mul_f32_e32 v4, v33, v15
	v_sub_f32_e32 v15, v1, v48
	v_fma_f32 v17, v1, 2.0, -v15
	v_mul_f32_e32 v1, v34, v13
	v_fmac_f32_e32 v4, v14, v32
	v_fma_f32 v32, v12, v53, -v1
	v_mul_f32_e32 v1, v36, v11
	v_fma_f32 v3, v14, v33, -v3
	v_mul_f32_e32 v13, v53, v13
	;; [unrolled: 2-line block ×3, first 2 shown]
	v_fmac_f32_e32 v13, v12, v34
	v_mul_f32_e32 v34, v35, v11
	v_fma_f32 v35, v20, v37, -v1
	v_mul_f32_e32 v1, v55, v23
	v_mul_f32_e32 v11, v54, v23
	v_sub_f32_e32 v14, v2, v47
	v_fmac_f32_e32 v34, v10, v36
	v_mul_f32_e32 v21, v37, v21
	v_fma_f32 v10, v22, v54, -v1
	v_fmac_f32_e32 v11, v22, v55
	v_mul_f32_e32 v1, v57, v19
	v_mul_f32_e32 v22, v56, v19
	v_sub_f32_e32 v19, v52, v44
	v_fmac_f32_e32 v21, v20, v38
	v_fma_f32 v20, v18, v56, -v1
	v_fmac_f32_e32 v22, v18, v57
	v_sub_f32_e32 v12, v39, v46
	v_sub_f32_e32 v18, v49, v41
	;; [unrolled: 1-line block ×4, first 2 shown]
	v_add_f32_e32 v37, v14, v19
	v_sub_f32_e32 v44, v15, v43
	v_add_f32_e32 v38, v23, v36
	v_mov_b32_e32 v41, v37
	v_sub_f32_e32 v42, v12, v18
	v_mov_b32_e32 v45, v44
	v_fmac_f32_e32 v41, 0x3f3504f3, v38
	v_fmac_f32_e32 v45, 0x3f3504f3, v42
	;; [unrolled: 1-line block ×4, first 2 shown]
	v_fma_f32 v16, v2, 2.0, -v14
	v_mul_f32_e32 v1, v41, v4
	v_mul_f32_e32 v2, v45, v4
	v_fma_f32 v1, v45, v3, -v1
	v_fmac_f32_e32 v2, v41, v3
	v_fma_f32 v41, v37, 2.0, -v41
	v_fma_f32 v3, v44, 2.0, -v45
	v_mul_f32_e32 v45, v41, v11
	v_mul_f32_e32 v4, v3, v11
	v_fma_f32 v3, v3, v10, -v45
	v_fmac_f32_e32 v4, v41, v10
	v_fma_f32 v10, v51, 2.0, -v43
	v_fma_f32 v11, v50, 2.0, -v36
	;; [unrolled: 1-line block ×6, first 2 shown]
	v_sub_f32_e32 v36, v16, v10
	v_sub_f32_e32 v41, v39, v11
	;; [unrolled: 1-line block ×4, first 2 shown]
	v_add_f32_e32 v43, v36, v41
	v_sub_f32_e32 v45, v19, v18
	v_mul_f32_e32 v10, v43, v13
	v_mul_f32_e32 v11, v45, v13
	v_fma_f32 v10, v45, v32, -v10
	v_fmac_f32_e32 v11, v43, v32
	v_fma_f32 v32, v12, 2.0, -v42
	global_load_dwordx2 v[12:13], v7, s[16:17]
	v_fma_f32 v9, v14, 2.0, -v37
	v_fma_f32 v7, v23, 2.0, -v38
	;; [unrolled: 1-line block ×3, first 2 shown]
	v_mov_b32_e32 v37, v9
	v_fmac_f32_e32 v37, 0xbf3504f3, v7
	v_mov_b32_e32 v38, v23
	v_fmac_f32_e32 v37, 0x3f3504f3, v32
	v_fmac_f32_e32 v38, 0xbf3504f3, v32
	;; [unrolled: 1-line block ×3, first 2 shown]
	v_mul_f32_e32 v7, v37, v34
	v_mul_f32_e32 v15, v38, v34
	v_fma_f32 v14, v38, v33, -v7
	v_fma_f32 v7, v26, 2.0, -v18
	v_fma_f32 v18, v39, 2.0, -v41
	v_fma_f32 v26, v16, 2.0, -v36
	v_fma_f32 v32, v17, 2.0, -v19
	v_fmac_f32_e32 v15, v37, v33
	v_sub_f32_e32 v7, v26, v7
	v_sub_f32_e32 v33, v32, v18
	v_mul_f32_e32 v16, v7, v21
	v_mul_f32_e32 v17, v33, v21
	v_fma_f32 v21, v36, 2.0, -v43
	v_fma_f32 v18, v19, 2.0, -v45
	v_mul_f32_e32 v19, v18, v22
	v_mul_f32_e32 v22, v21, v22
	v_fma_f32 v18, v18, v20, -v22
	v_fma_f32 v22, v23, 2.0, -v38
	v_mul_f32_e32 v23, v40, v25
	v_fmac_f32_e32 v19, v21, v20
	v_mul_f32_e32 v20, v58, v25
	v_fmac_f32_e32 v23, v24, v58
	v_fma_f32 v9, v9, 2.0, -v37
	v_fma_f32 v20, v24, v40, -v20
	v_mul_f32_e32 v21, v22, v23
	v_fmac_f32_e32 v21, v9, v20
	v_mul_f32_e32 v9, v9, v23
	v_fma_f32 v20, v22, v20, -v9
	v_fmac_f32_e32 v17, v7, v35
	v_fma_f32 v25, v26, 2.0, -v7
	v_fma_f32 v16, v33, v35, -v16
	s_waitcnt vmcnt(0)
	v_mul_f32_e32 v9, v12, v29
	v_mul_f32_e32 v7, v13, v29
	v_fmac_f32_e32 v9, v13, v28
	v_fma_f32 v7, v12, v28, -v7
	v_mul_f32_e32 v12, v9, v31
	v_fma_f32 v26, v30, v7, -v12
	v_mad_u64_u32 v[12:13], s[2:3], s10, v27, 0
	s_movk_i32 s2, 0x50
	v_mul_f32_e32 v29, v7, v31
	v_mul_lo_u16_sdwa v0, v0, s2 dst_sel:DWORD dst_unused:UNUSED_PAD src0_sel:WORD_1 src1_sel:DWORD
	v_fmac_f32_e32 v29, v30, v9
	v_or_b32_e32 v30, v0, v8
	v_mad_u64_u32 v[22:23], s[2:3], s8, v30, 0
	v_mov_b32_e32 v0, v13
	v_mad_u64_u32 v[7:8], s[2:3], s11, v27, v[0:1]
	v_mov_b32_e32 v0, v23
	v_fma_f32 v28, v32, 2.0, -v33
	v_mad_u64_u32 v[23:24], s[2:3], s9, v30, v[0:1]
	v_mul_f32_e32 v0, v25, v29
	v_fma_f32 v8, v28, v26, -v0
	v_mov_b32_e32 v13, v7
	v_mov_b32_e32 v0, s1
	v_add_co_u32_e32 v7, vcc, s0, v5
	v_addc_co_u32_e32 v0, vcc, v0, v6, vcc
	v_lshlrev_b64 v[5:6], 3, v[12:13]
	v_mul_f32_e32 v9, v28, v29
	v_fmac_f32_e32 v9, v25, v26
	v_add_co_u32_e32 v25, vcc, v7, v5
	v_addc_co_u32_e32 v26, vcc, v0, v6, vcc
	v_lshlrev_b64 v[5:6], 3, v[22:23]
	v_add_u32_e32 v24, 10, v30
	v_mad_u64_u32 v[12:13], s[0:1], s8, v24, 0
	v_add_co_u32_e32 v5, vcc, v25, v5
	v_addc_co_u32_e32 v6, vcc, v26, v6, vcc
	global_store_dwordx2 v[5:6], v[8:9], off
	v_add_u32_e32 v9, 20, v30
	v_mad_u64_u32 v[7:8], s[0:1], s8, v9, 0
	v_mov_b32_e32 v0, v13
	v_mad_u64_u32 v[22:23], s[0:1], s9, v24, v[0:1]
	v_mov_b32_e32 v0, v8
	v_mad_u64_u32 v[8:9], s[0:1], s9, v9, v[0:1]
	v_mov_b32_e32 v13, v22
	v_add_u32_e32 v9, 30, v30
	v_lshlrev_b64 v[5:6], 3, v[12:13]
	v_mad_u64_u32 v[12:13], s[0:1], s8, v9, 0
	v_add_co_u32_e32 v5, vcc, v25, v5
	v_addc_co_u32_e32 v6, vcc, v26, v6, vcc
	v_mov_b32_e32 v0, v13
	global_store_dwordx2 v[5:6], v[20:21], off
	v_lshlrev_b64 v[5:6], 3, v[7:8]
	v_mad_u64_u32 v[7:8], s[0:1], s9, v9, v[0:1]
	v_add_u32_e32 v9, 40, v30
	v_add_co_u32_e32 v5, vcc, v25, v5
	v_mov_b32_e32 v13, v7
	v_mad_u64_u32 v[7:8], s[0:1], s8, v9, 0
	v_addc_co_u32_e32 v6, vcc, v26, v6, vcc
	v_mov_b32_e32 v0, v8
	v_mad_u64_u32 v[8:9], s[0:1], s9, v9, v[0:1]
	v_add_u32_e32 v9, 50, v30
	global_store_dwordx2 v[5:6], v[18:19], off
	v_lshlrev_b64 v[5:6], 3, v[12:13]
	v_mad_u64_u32 v[12:13], s[0:1], s8, v9, 0
	v_add_co_u32_e32 v5, vcc, v25, v5
	v_addc_co_u32_e32 v6, vcc, v26, v6, vcc
	v_mov_b32_e32 v0, v13
	global_store_dwordx2 v[5:6], v[3:4], off
	v_mad_u64_u32 v[5:6], s[0:1], s9, v9, v[0:1]
	v_lshlrev_b64 v[3:4], 3, v[7:8]
	v_add_u32_e32 v7, 60, v30
	v_mov_b32_e32 v13, v5
	v_mad_u64_u32 v[5:6], s[0:1], s8, v7, 0
	v_add_co_u32_e32 v3, vcc, v25, v3
	v_mov_b32_e32 v0, v6
	v_mad_u64_u32 v[6:7], s[0:1], s9, v7, v[0:1]
	v_add_u32_e32 v9, 0x46, v30
	v_addc_co_u32_e32 v4, vcc, v26, v4, vcc
	v_mad_u64_u32 v[7:8], s[0:1], s8, v9, 0
	global_store_dwordx2 v[3:4], v[16:17], off
	v_lshlrev_b64 v[3:4], 3, v[12:13]
	v_mov_b32_e32 v0, v8
	v_add_co_u32_e32 v3, vcc, v25, v3
	v_addc_co_u32_e32 v4, vcc, v26, v4, vcc
	global_store_dwordx2 v[3:4], v[14:15], off
	v_lshlrev_b64 v[3:4], 3, v[5:6]
	v_mad_u64_u32 v[5:6], s[0:1], s9, v9, v[0:1]
	v_add_co_u32_e32 v3, vcc, v25, v3
	v_addc_co_u32_e32 v4, vcc, v26, v4, vcc
	v_mov_b32_e32 v8, v5
	global_store_dwordx2 v[3:4], v[10:11], off
	v_lshlrev_b64 v[3:4], 3, v[7:8]
	v_add_co_u32_e32 v3, vcc, v25, v3
	v_addc_co_u32_e32 v4, vcc, v26, v4, vcc
	global_store_dwordx2 v[3:4], v[1:2], off
.LBB0_19:
	s_endpgm
	.section	.rodata,"a",@progbits
	.p2align	6, 0x0
	.amdhsa_kernel fft_rtc_fwd_len80_factors_10_8_wgs_160_tpt_10_sp_op_CI_CI_sbcc_twdbase8_3step_dirReg
		.amdhsa_group_segment_fixed_size 0
		.amdhsa_private_segment_fixed_size 0
		.amdhsa_kernarg_size 112
		.amdhsa_user_sgpr_count 6
		.amdhsa_user_sgpr_private_segment_buffer 1
		.amdhsa_user_sgpr_dispatch_ptr 0
		.amdhsa_user_sgpr_queue_ptr 0
		.amdhsa_user_sgpr_kernarg_segment_ptr 1
		.amdhsa_user_sgpr_dispatch_id 0
		.amdhsa_user_sgpr_flat_scratch_init 0
		.amdhsa_user_sgpr_private_segment_size 0
		.amdhsa_uses_dynamic_stack 0
		.amdhsa_system_sgpr_private_segment_wavefront_offset 0
		.amdhsa_system_sgpr_workgroup_id_x 1
		.amdhsa_system_sgpr_workgroup_id_y 0
		.amdhsa_system_sgpr_workgroup_id_z 0
		.amdhsa_system_sgpr_workgroup_info 0
		.amdhsa_system_vgpr_workitem_id 0
		.amdhsa_next_free_vgpr 59
		.amdhsa_next_free_sgpr 53
		.amdhsa_reserve_vcc 1
		.amdhsa_reserve_flat_scratch 0
		.amdhsa_float_round_mode_32 0
		.amdhsa_float_round_mode_16_64 0
		.amdhsa_float_denorm_mode_32 3
		.amdhsa_float_denorm_mode_16_64 3
		.amdhsa_dx10_clamp 1
		.amdhsa_ieee_mode 1
		.amdhsa_fp16_overflow 0
		.amdhsa_exception_fp_ieee_invalid_op 0
		.amdhsa_exception_fp_denorm_src 0
		.amdhsa_exception_fp_ieee_div_zero 0
		.amdhsa_exception_fp_ieee_overflow 0
		.amdhsa_exception_fp_ieee_underflow 0
		.amdhsa_exception_fp_ieee_inexact 0
		.amdhsa_exception_int_div_zero 0
	.end_amdhsa_kernel
	.text
.Lfunc_end0:
	.size	fft_rtc_fwd_len80_factors_10_8_wgs_160_tpt_10_sp_op_CI_CI_sbcc_twdbase8_3step_dirReg, .Lfunc_end0-fft_rtc_fwd_len80_factors_10_8_wgs_160_tpt_10_sp_op_CI_CI_sbcc_twdbase8_3step_dirReg
                                        ; -- End function
	.section	.AMDGPU.csdata,"",@progbits
; Kernel info:
; codeLenInByte = 6080
; NumSgprs: 57
; NumVgprs: 59
; ScratchSize: 0
; MemoryBound: 0
; FloatMode: 240
; IeeeMode: 1
; LDSByteSize: 0 bytes/workgroup (compile time only)
; SGPRBlocks: 7
; VGPRBlocks: 14
; NumSGPRsForWavesPerEU: 57
; NumVGPRsForWavesPerEU: 59
; Occupancy: 4
; WaveLimiterHint : 1
; COMPUTE_PGM_RSRC2:SCRATCH_EN: 0
; COMPUTE_PGM_RSRC2:USER_SGPR: 6
; COMPUTE_PGM_RSRC2:TRAP_HANDLER: 0
; COMPUTE_PGM_RSRC2:TGID_X_EN: 1
; COMPUTE_PGM_RSRC2:TGID_Y_EN: 0
; COMPUTE_PGM_RSRC2:TGID_Z_EN: 0
; COMPUTE_PGM_RSRC2:TIDIG_COMP_CNT: 0
	.type	__hip_cuid_4e454e20a84af9a0,@object ; @__hip_cuid_4e454e20a84af9a0
	.section	.bss,"aw",@nobits
	.globl	__hip_cuid_4e454e20a84af9a0
__hip_cuid_4e454e20a84af9a0:
	.byte	0                               ; 0x0
	.size	__hip_cuid_4e454e20a84af9a0, 1

	.ident	"AMD clang version 19.0.0git (https://github.com/RadeonOpenCompute/llvm-project roc-6.4.0 25133 c7fe45cf4b819c5991fe208aaa96edf142730f1d)"
	.section	".note.GNU-stack","",@progbits
	.addrsig
	.addrsig_sym __hip_cuid_4e454e20a84af9a0
	.amdgpu_metadata
---
amdhsa.kernels:
  - .args:
      - .actual_access:  read_only
        .address_space:  global
        .offset:         0
        .size:           8
        .value_kind:     global_buffer
      - .address_space:  global
        .offset:         8
        .size:           8
        .value_kind:     global_buffer
      - .offset:         16
        .size:           8
        .value_kind:     by_value
      - .actual_access:  read_only
        .address_space:  global
        .offset:         24
        .size:           8
        .value_kind:     global_buffer
      - .actual_access:  read_only
        .address_space:  global
        .offset:         32
        .size:           8
        .value_kind:     global_buffer
      - .actual_access:  read_only
        .address_space:  global
        .offset:         40
        .size:           8
        .value_kind:     global_buffer
      - .offset:         48
        .size:           8
        .value_kind:     by_value
      - .actual_access:  read_only
        .address_space:  global
        .offset:         56
        .size:           8
        .value_kind:     global_buffer
      - .actual_access:  read_only
        .address_space:  global
        .offset:         64
        .size:           8
        .value_kind:     global_buffer
      - .offset:         72
        .size:           4
        .value_kind:     by_value
      - .actual_access:  read_only
        .address_space:  global
        .offset:         80
        .size:           8
        .value_kind:     global_buffer
      - .actual_access:  read_only
        .address_space:  global
        .offset:         88
        .size:           8
        .value_kind:     global_buffer
      - .actual_access:  read_only
        .address_space:  global
        .offset:         96
        .size:           8
        .value_kind:     global_buffer
      - .actual_access:  write_only
        .address_space:  global
        .offset:         104
        .size:           8
        .value_kind:     global_buffer
    .group_segment_fixed_size: 0
    .kernarg_segment_align: 8
    .kernarg_segment_size: 112
    .language:       OpenCL C
    .language_version:
      - 2
      - 0
    .max_flat_workgroup_size: 160
    .name:           fft_rtc_fwd_len80_factors_10_8_wgs_160_tpt_10_sp_op_CI_CI_sbcc_twdbase8_3step_dirReg
    .private_segment_fixed_size: 0
    .sgpr_count:     57
    .sgpr_spill_count: 0
    .symbol:         fft_rtc_fwd_len80_factors_10_8_wgs_160_tpt_10_sp_op_CI_CI_sbcc_twdbase8_3step_dirReg.kd
    .uniform_work_group_size: 1
    .uses_dynamic_stack: false
    .vgpr_count:     59
    .vgpr_spill_count: 0
    .wavefront_size: 64
amdhsa.target:   amdgcn-amd-amdhsa--gfx906
amdhsa.version:
  - 1
  - 2
...

	.end_amdgpu_metadata
